;; amdgpu-corpus repo=ROCm/rocFFT kind=compiled arch=gfx1201 opt=O3
	.text
	.amdgcn_target "amdgcn-amd-amdhsa--gfx1201"
	.amdhsa_code_object_version 6
	.protected	fft_rtc_fwd_len135_factors_5_3_3_3_wgs_126_tpt_9_halfLds_half_ip_CI_sbrr_dirReg ; -- Begin function fft_rtc_fwd_len135_factors_5_3_3_3_wgs_126_tpt_9_halfLds_half_ip_CI_sbrr_dirReg
	.globl	fft_rtc_fwd_len135_factors_5_3_3_3_wgs_126_tpt_9_halfLds_half_ip_CI_sbrr_dirReg
	.p2align	8
	.type	fft_rtc_fwd_len135_factors_5_3_3_3_wgs_126_tpt_9_halfLds_half_ip_CI_sbrr_dirReg,@function
fft_rtc_fwd_len135_factors_5_3_3_3_wgs_126_tpt_9_halfLds_half_ip_CI_sbrr_dirReg: ; @fft_rtc_fwd_len135_factors_5_3_3_3_wgs_126_tpt_9_halfLds_half_ip_CI_sbrr_dirReg
; %bb.0:
	s_clause 0x1
	s_load_b64 s[12:13], s[0:1], 0x18
	s_load_b128 s[4:7], s[0:1], 0x0
	v_mul_u32_u24_e32 v1, 0x1c72, v0
	v_mov_b32_e32 v6, 0
	s_load_b64 s[10:11], s[0:1], 0x50
	s_wait_kmcnt 0x0
	s_load_b64 s[8:9], s[12:13], 0x0
	v_lshrrev_b32_e32 v1, 16, v1
	v_cmp_lt_u64_e64 s2, s[6:7], 2
	s_delay_alu instid0(VALU_DEP_2) | instskip(SKIP_4) | instid1(VALU_DEP_1)
	v_mad_co_u64_u32 v[2:3], null, ttmp9, 14, v[1:2]
	v_mov_b32_e32 v4, 0
	v_mov_b32_e32 v5, 0
	;; [unrolled: 1-line block ×3, first 2 shown]
	s_and_b32 vcc_lo, exec_lo, s2
	v_dual_mov_b32 v11, v3 :: v_dual_mov_b32 v10, v2
	s_cbranch_vccnz .LBB0_8
; %bb.1:
	s_load_b64 s[2:3], s[0:1], 0x10
	v_dual_mov_b32 v4, 0 :: v_dual_mov_b32 v9, v3
	v_dual_mov_b32 v5, 0 :: v_dual_mov_b32 v8, v2
	s_add_nc_u64 s[14:15], s[12:13], 8
	s_mov_b64 s[16:17], 1
	s_wait_kmcnt 0x0
	s_add_nc_u64 s[18:19], s[2:3], 8
	s_mov_b32 s3, 0
.LBB0_2:                                ; =>This Inner Loop Header: Depth=1
	s_load_b64 s[20:21], s[18:19], 0x0
                                        ; implicit-def: $vgpr10_vgpr11
	s_mov_b32 s2, exec_lo
	s_wait_kmcnt 0x0
	v_or_b32_e32 v7, s21, v9
	s_delay_alu instid0(VALU_DEP_1)
	v_cmpx_ne_u64_e32 0, v[6:7]
	s_wait_alu 0xfffe
	s_xor_b32 s22, exec_lo, s2
	s_cbranch_execz .LBB0_4
; %bb.3:                                ;   in Loop: Header=BB0_2 Depth=1
	s_cvt_f32_u32 s2, s20
	s_cvt_f32_u32 s23, s21
	s_sub_nc_u64 s[26:27], 0, s[20:21]
	s_wait_alu 0xfffe
	s_delay_alu instid0(SALU_CYCLE_1) | instskip(SKIP_1) | instid1(SALU_CYCLE_2)
	s_fmamk_f32 s2, s23, 0x4f800000, s2
	s_wait_alu 0xfffe
	v_s_rcp_f32 s2, s2
	s_delay_alu instid0(TRANS32_DEP_1) | instskip(SKIP_1) | instid1(SALU_CYCLE_2)
	s_mul_f32 s2, s2, 0x5f7ffffc
	s_wait_alu 0xfffe
	s_mul_f32 s23, s2, 0x2f800000
	s_wait_alu 0xfffe
	s_delay_alu instid0(SALU_CYCLE_2) | instskip(SKIP_1) | instid1(SALU_CYCLE_2)
	s_trunc_f32 s23, s23
	s_wait_alu 0xfffe
	s_fmamk_f32 s2, s23, 0xcf800000, s2
	s_cvt_u32_f32 s25, s23
	s_wait_alu 0xfffe
	s_delay_alu instid0(SALU_CYCLE_1) | instskip(SKIP_1) | instid1(SALU_CYCLE_2)
	s_cvt_u32_f32 s24, s2
	s_wait_alu 0xfffe
	s_mul_u64 s[28:29], s[26:27], s[24:25]
	s_wait_alu 0xfffe
	s_mul_hi_u32 s31, s24, s29
	s_mul_i32 s30, s24, s29
	s_mul_hi_u32 s2, s24, s28
	s_mul_i32 s33, s25, s28
	s_wait_alu 0xfffe
	s_add_nc_u64 s[30:31], s[2:3], s[30:31]
	s_mul_hi_u32 s23, s25, s28
	s_mul_hi_u32 s34, s25, s29
	s_add_co_u32 s2, s30, s33
	s_wait_alu 0xfffe
	s_add_co_ci_u32 s2, s31, s23
	s_mul_i32 s28, s25, s29
	s_add_co_ci_u32 s29, s34, 0
	s_wait_alu 0xfffe
	s_add_nc_u64 s[28:29], s[2:3], s[28:29]
	s_wait_alu 0xfffe
	v_add_co_u32 v1, s2, s24, s28
	s_delay_alu instid0(VALU_DEP_1) | instskip(SKIP_1) | instid1(VALU_DEP_1)
	s_cmp_lg_u32 s2, 0
	s_add_co_ci_u32 s25, s25, s29
	v_readfirstlane_b32 s24, v1
	s_wait_alu 0xfffe
	s_delay_alu instid0(VALU_DEP_1)
	s_mul_u64 s[26:27], s[26:27], s[24:25]
	s_wait_alu 0xfffe
	s_mul_hi_u32 s29, s24, s27
	s_mul_i32 s28, s24, s27
	s_mul_hi_u32 s2, s24, s26
	s_mul_i32 s30, s25, s26
	s_wait_alu 0xfffe
	s_add_nc_u64 s[28:29], s[2:3], s[28:29]
	s_mul_hi_u32 s23, s25, s26
	s_mul_hi_u32 s24, s25, s27
	s_wait_alu 0xfffe
	s_add_co_u32 s2, s28, s30
	s_add_co_ci_u32 s2, s29, s23
	s_mul_i32 s26, s25, s27
	s_add_co_ci_u32 s27, s24, 0
	s_wait_alu 0xfffe
	s_add_nc_u64 s[26:27], s[2:3], s[26:27]
	s_wait_alu 0xfffe
	v_add_co_u32 v1, s2, v1, s26
	s_delay_alu instid0(VALU_DEP_1) | instskip(SKIP_1) | instid1(VALU_DEP_1)
	s_cmp_lg_u32 s2, 0
	s_add_co_ci_u32 s2, s25, s27
	v_mul_hi_u32 v3, v8, v1
	s_wait_alu 0xfffe
	v_mad_co_u64_u32 v[10:11], null, v8, s2, 0
	v_mad_co_u64_u32 v[12:13], null, v9, v1, 0
	;; [unrolled: 1-line block ×3, first 2 shown]
	s_delay_alu instid0(VALU_DEP_3) | instskip(SKIP_1) | instid1(VALU_DEP_4)
	v_add_co_u32 v1, vcc_lo, v3, v10
	s_wait_alu 0xfffd
	v_add_co_ci_u32_e32 v3, vcc_lo, 0, v11, vcc_lo
	s_delay_alu instid0(VALU_DEP_2) | instskip(SKIP_1) | instid1(VALU_DEP_2)
	v_add_co_u32 v1, vcc_lo, v1, v12
	s_wait_alu 0xfffd
	v_add_co_ci_u32_e32 v1, vcc_lo, v3, v13, vcc_lo
	s_wait_alu 0xfffd
	v_add_co_ci_u32_e32 v3, vcc_lo, 0, v15, vcc_lo
	s_delay_alu instid0(VALU_DEP_2) | instskip(SKIP_1) | instid1(VALU_DEP_2)
	v_add_co_u32 v1, vcc_lo, v1, v14
	s_wait_alu 0xfffd
	v_add_co_ci_u32_e32 v3, vcc_lo, 0, v3, vcc_lo
	s_delay_alu instid0(VALU_DEP_2) | instskip(SKIP_1) | instid1(VALU_DEP_3)
	v_mul_lo_u32 v7, s21, v1
	v_mad_co_u64_u32 v[10:11], null, s20, v1, 0
	v_mul_lo_u32 v12, s20, v3
	s_delay_alu instid0(VALU_DEP_2) | instskip(NEXT) | instid1(VALU_DEP_2)
	v_sub_co_u32 v10, vcc_lo, v8, v10
	v_add3_u32 v7, v11, v12, v7
	s_delay_alu instid0(VALU_DEP_1) | instskip(SKIP_1) | instid1(VALU_DEP_1)
	v_sub_nc_u32_e32 v11, v9, v7
	s_wait_alu 0xfffd
	v_subrev_co_ci_u32_e64 v11, s2, s21, v11, vcc_lo
	v_add_co_u32 v12, s2, v1, 2
	s_wait_alu 0xf1ff
	v_add_co_ci_u32_e64 v13, s2, 0, v3, s2
	v_sub_co_u32 v14, s2, v10, s20
	v_sub_co_ci_u32_e32 v7, vcc_lo, v9, v7, vcc_lo
	s_wait_alu 0xf1ff
	v_subrev_co_ci_u32_e64 v11, s2, 0, v11, s2
	s_delay_alu instid0(VALU_DEP_3) | instskip(NEXT) | instid1(VALU_DEP_3)
	v_cmp_le_u32_e32 vcc_lo, s20, v14
	v_cmp_eq_u32_e64 s2, s21, v7
	s_wait_alu 0xfffd
	v_cndmask_b32_e64 v14, 0, -1, vcc_lo
	v_cmp_le_u32_e32 vcc_lo, s21, v11
	s_wait_alu 0xfffd
	v_cndmask_b32_e64 v15, 0, -1, vcc_lo
	v_cmp_le_u32_e32 vcc_lo, s20, v10
	;; [unrolled: 3-line block ×3, first 2 shown]
	s_wait_alu 0xfffd
	v_cndmask_b32_e64 v16, 0, -1, vcc_lo
	v_cmp_eq_u32_e32 vcc_lo, s21, v11
	s_wait_alu 0xf1ff
	s_delay_alu instid0(VALU_DEP_2)
	v_cndmask_b32_e64 v7, v16, v10, s2
	s_wait_alu 0xfffd
	v_cndmask_b32_e32 v11, v15, v14, vcc_lo
	v_add_co_u32 v14, vcc_lo, v1, 1
	s_wait_alu 0xfffd
	v_add_co_ci_u32_e32 v15, vcc_lo, 0, v3, vcc_lo
	s_delay_alu instid0(VALU_DEP_3) | instskip(SKIP_2) | instid1(VALU_DEP_3)
	v_cmp_ne_u32_e32 vcc_lo, 0, v11
	s_wait_alu 0xfffd
	v_cndmask_b32_e32 v12, v14, v12, vcc_lo
	v_cndmask_b32_e32 v10, v15, v13, vcc_lo
	v_cmp_ne_u32_e32 vcc_lo, 0, v7
	s_wait_alu 0xfffd
	s_delay_alu instid0(VALU_DEP_2)
	v_dual_cndmask_b32 v11, v3, v10 :: v_dual_cndmask_b32 v10, v1, v12
.LBB0_4:                                ;   in Loop: Header=BB0_2 Depth=1
	s_wait_alu 0xfffe
	s_and_not1_saveexec_b32 s2, s22
	s_cbranch_execz .LBB0_6
; %bb.5:                                ;   in Loop: Header=BB0_2 Depth=1
	v_cvt_f32_u32_e32 v1, s20
	s_sub_co_i32 s22, 0, s20
	v_mov_b32_e32 v11, v6
	s_delay_alu instid0(VALU_DEP_2) | instskip(NEXT) | instid1(TRANS32_DEP_1)
	v_rcp_iflag_f32_e32 v1, v1
	v_mul_f32_e32 v1, 0x4f7ffffe, v1
	s_delay_alu instid0(VALU_DEP_1) | instskip(SKIP_1) | instid1(VALU_DEP_1)
	v_cvt_u32_f32_e32 v1, v1
	s_wait_alu 0xfffe
	v_mul_lo_u32 v3, s22, v1
	s_delay_alu instid0(VALU_DEP_1) | instskip(NEXT) | instid1(VALU_DEP_1)
	v_mul_hi_u32 v3, v1, v3
	v_add_nc_u32_e32 v1, v1, v3
	s_delay_alu instid0(VALU_DEP_1) | instskip(NEXT) | instid1(VALU_DEP_1)
	v_mul_hi_u32 v1, v8, v1
	v_mul_lo_u32 v3, v1, s20
	v_add_nc_u32_e32 v7, 1, v1
	s_delay_alu instid0(VALU_DEP_2) | instskip(NEXT) | instid1(VALU_DEP_1)
	v_sub_nc_u32_e32 v3, v8, v3
	v_cmp_le_u32_e32 vcc_lo, s20, v3
	v_subrev_nc_u32_e32 v10, s20, v3
	s_wait_alu 0xfffd
	v_cndmask_b32_e32 v1, v1, v7, vcc_lo
	s_delay_alu instid0(VALU_DEP_1) | instskip(NEXT) | instid1(VALU_DEP_3)
	v_add_nc_u32_e32 v7, 1, v1
	v_cndmask_b32_e32 v3, v3, v10, vcc_lo
	s_delay_alu instid0(VALU_DEP_1) | instskip(SKIP_1) | instid1(VALU_DEP_3)
	v_cmp_le_u32_e32 vcc_lo, s20, v3
	s_wait_alu 0xfffd
	v_cndmask_b32_e32 v10, v1, v7, vcc_lo
.LBB0_6:                                ;   in Loop: Header=BB0_2 Depth=1
	s_wait_alu 0xfffe
	s_or_b32 exec_lo, exec_lo, s2
	s_load_b64 s[22:23], s[14:15], 0x0
	v_mul_lo_u32 v1, v11, s20
	v_mul_lo_u32 v3, v10, s21
	v_mad_co_u64_u32 v[12:13], null, v10, s20, 0
	s_add_nc_u64 s[16:17], s[16:17], 1
	s_add_nc_u64 s[14:15], s[14:15], 8
	s_wait_alu 0xfffe
	v_cmp_ge_u64_e64 s2, s[16:17], s[6:7]
	s_add_nc_u64 s[18:19], s[18:19], 8
	s_delay_alu instid0(VALU_DEP_2) | instskip(NEXT) | instid1(VALU_DEP_3)
	v_add3_u32 v1, v13, v3, v1
	v_sub_co_u32 v3, vcc_lo, v8, v12
	s_wait_alu 0xfffd
	s_delay_alu instid0(VALU_DEP_2) | instskip(SKIP_3) | instid1(VALU_DEP_2)
	v_sub_co_ci_u32_e32 v1, vcc_lo, v9, v1, vcc_lo
	s_and_b32 vcc_lo, exec_lo, s2
	s_wait_kmcnt 0x0
	v_mul_lo_u32 v7, s23, v3
	v_mul_lo_u32 v1, s22, v1
	v_mad_co_u64_u32 v[4:5], null, s22, v3, v[4:5]
	s_delay_alu instid0(VALU_DEP_1)
	v_add3_u32 v5, v7, v5, v1
	s_wait_alu 0xfffe
	s_cbranch_vccnz .LBB0_8
; %bb.7:                                ;   in Loop: Header=BB0_2 Depth=1
	v_dual_mov_b32 v8, v10 :: v_dual_mov_b32 v9, v11
	s_branch .LBB0_2
.LBB0_8:
	s_lshl_b64 s[2:3], s[6:7], 3
	v_mul_hi_u32 v1, 0x1c71c71d, v0
	s_wait_alu 0xfffe
	s_add_nc_u64 s[2:3], s[12:13], s[2:3]
	s_load_b64 s[0:1], s[0:1], 0x20
	s_load_b64 s[2:3], s[2:3], 0x0
                                        ; implicit-def: $vgpr15
                                        ; implicit-def: $vgpr16
                                        ; implicit-def: $vgpr17
                                        ; implicit-def: $vgpr18
	s_delay_alu instid0(VALU_DEP_1) | instskip(NEXT) | instid1(VALU_DEP_1)
	v_mul_u32_u24_e32 v1, 9, v1
	v_sub_nc_u32_e32 v9, v0, v1
	s_delay_alu instid0(VALU_DEP_1)
	v_add_nc_u32_e32 v12, 9, v9
	v_add_nc_u32_e32 v6, 18, v9
	;; [unrolled: 1-line block ×3, first 2 shown]
	s_wait_kmcnt 0x0
	v_cmp_gt_u64_e32 vcc_lo, s[0:1], v[10:11]
	v_mul_lo_u32 v3, s2, v11
	v_mul_lo_u32 v8, s3, v10
	v_mad_co_u64_u32 v[0:1], null, s2, v10, v[4:5]
	v_cmp_le_u64_e64 s0, s[0:1], v[10:11]
	s_delay_alu instid0(VALU_DEP_2) | instskip(SKIP_1) | instid1(VALU_DEP_3)
	v_add3_u32 v1, v8, v1, v3
	v_add_nc_u32_e32 v8, 36, v9
	s_and_saveexec_b32 s1, s0
	s_wait_alu 0xfffe
	s_xor_b32 s0, exec_lo, s1
; %bb.9:
	v_add_nc_u32_e32 v15, 9, v9
	v_add_nc_u32_e32 v16, 18, v9
	;; [unrolled: 1-line block ×4, first 2 shown]
; %bb.10:
	s_wait_alu 0xfffe
	s_or_saveexec_b32 s1, s0
	v_lshlrev_b64_e32 v[0:1], 2, v[0:1]
	v_add_nc_u32_e32 v11, 54, v9
	v_add_nc_u32_e32 v13, 0x5a, v9
	;; [unrolled: 1-line block ×4, first 2 shown]
                                        ; implicit-def: $vgpr21
                                        ; implicit-def: $vgpr28
                                        ; implicit-def: $vgpr22
                                        ; implicit-def: $vgpr25
                                        ; implicit-def: $vgpr23
                                        ; implicit-def: $vgpr26
                                        ; implicit-def: $vgpr24
                                        ; implicit-def: $vgpr29
                                        ; implicit-def: $vgpr3
                                        ; implicit-def: $vgpr20
                                        ; implicit-def: $vgpr34
                                        ; implicit-def: $vgpr37
                                        ; implicit-def: $vgpr33
                                        ; implicit-def: $vgpr30
                                        ; implicit-def: $vgpr35
                                        ; implicit-def: $vgpr31
                                        ; implicit-def: $vgpr36
                                        ; implicit-def: $vgpr32
                                        ; implicit-def: $vgpr5
                                        ; implicit-def: $vgpr4
                                        ; implicit-def: $vgpr42
                                        ; implicit-def: $vgpr40
                                        ; implicit-def: $vgpr43
                                        ; implicit-def: $vgpr38
                                        ; implicit-def: $vgpr44
                                        ; implicit-def: $vgpr39
                                        ; implicit-def: $vgpr45
                                        ; implicit-def: $vgpr41
                                        ; implicit-def: $vgpr27
                                        ; implicit-def: $vgpr19
	s_wait_alu 0xfffe
	s_xor_b32 exec_lo, exec_lo, s1
	s_cbranch_execz .LBB0_12
; %bb.11:
	v_mad_co_u64_u32 v[3:4], null, s8, v9, 0
	v_mad_co_u64_u32 v[15:16], null, s8, v7, 0
	v_add_nc_u32_e32 v24, 0x51, v9
	v_mad_co_u64_u32 v[17:18], null, s8, v11, 0
	v_add_co_u32 v37, s0, s10, v0
	v_mad_co_u64_u32 v[4:5], null, s9, v9, v[4:5]
	v_mov_b32_e32 v5, v16
	v_mad_co_u64_u32 v[19:20], null, s8, v24, 0
	v_add_nc_u32_e32 v26, 0x6c, v9
	s_wait_alu 0xf1ff
	v_add_co_ci_u32_e64 v46, s0, s11, v1, s0
	v_mad_co_u64_u32 v[21:22], null, s9, v7, v[5:6]
	v_mov_b32_e32 v5, v18
	v_lshlrev_b64_e32 v[3:4], 2, v[3:4]
	v_add_nc_u32_e32 v35, 63, v9
	v_add_nc_u32_e32 v47, 0x48, v9
	;; [unrolled: 1-line block ×3, first 2 shown]
	v_mov_b32_e32 v16, v21
	v_mad_co_u64_u32 v[21:22], null, s9, v11, v[5:6]
	v_mov_b32_e32 v5, v20
	v_mad_co_u64_u32 v[22:23], null, s8, v26, 0
	s_delay_alu instid0(VALU_DEP_4) | instskip(SKIP_1) | instid1(VALU_DEP_4)
	v_lshlrev_b64_e32 v[15:16], 2, v[15:16]
	v_add_co_u32 v3, s0, v37, v3
	v_mad_co_u64_u32 v[24:25], null, s9, v24, v[5:6]
	s_delay_alu instid0(VALU_DEP_4) | instskip(SKIP_3) | instid1(VALU_DEP_4)
	v_dual_mov_b32 v18, v21 :: v_dual_mov_b32 v5, v23
	s_wait_alu 0xf1ff
	v_add_co_ci_u32_e64 v4, s0, v46, v4, s0
	v_add_co_u32 v15, s0, v37, v15
	v_mov_b32_e32 v20, v24
	v_mad_co_u64_u32 v[24:25], null, s8, v12, 0
	v_mad_co_u64_u32 v[26:27], null, s9, v26, v[5:6]
	v_lshlrev_b64_e32 v[17:18], 2, v[17:18]
	v_mad_co_u64_u32 v[27:28], null, s8, v8, 0
	s_wait_alu 0xf1ff
	v_add_co_ci_u32_e64 v16, s0, v46, v16, s0
	v_mov_b32_e32 v5, v25
	v_lshlrev_b64_e32 v[19:20], 2, v[19:20]
	v_add_co_u32 v17, s0, v37, v17
	v_mov_b32_e32 v23, v26
	s_wait_alu 0xf1ff
	v_add_co_ci_u32_e64 v18, s0, v46, v18, s0
	v_mad_co_u64_u32 v[25:26], null, s9, v12, v[5:6]
	v_mov_b32_e32 v5, v28
	v_mad_co_u64_u32 v[29:30], null, s8, v35, 0
	v_add_co_u32 v31, s0, v37, v19
	s_wait_alu 0xf1ff
	v_add_co_ci_u32_e64 v32, s0, v46, v20, s0
	v_lshlrev_b64_e32 v[19:20], 2, v[22:23]
	v_mad_co_u64_u32 v[21:22], null, s9, v8, v[5:6]
	v_mov_b32_e32 v5, v30
	v_mad_co_u64_u32 v[22:23], null, s8, v13, 0
	s_delay_alu instid0(VALU_DEP_4)
	v_add_co_u32 v33, s0, v37, v19
	s_wait_alu 0xf1ff
	v_add_co_ci_u32_e64 v34, s0, v46, v20, s0
	v_lshlrev_b64_e32 v[19:20], 2, v[24:25]
	v_mov_b32_e32 v28, v21
	v_mad_co_u64_u32 v[24:25], null, s9, v35, v[5:6]
	v_mov_b32_e32 v5, v23
	v_mad_co_u64_u32 v[35:36], null, s8, v38, 0
	v_add_co_u32 v25, s0, v37, v19
	s_wait_alu 0xf1ff
	v_add_co_ci_u32_e64 v26, s0, v46, v20, s0
	v_lshlrev_b64_e32 v[19:20], 2, v[27:28]
	v_mad_co_u64_u32 v[27:28], null, s9, v13, v[5:6]
	v_dual_mov_b32 v30, v24 :: v_dual_mov_b32 v5, v36
	v_mad_co_u64_u32 v[44:45], null, s8, v47, 0
	s_delay_alu instid0(VALU_DEP_4)
	v_add_co_u32 v42, s0, v37, v19
	s_wait_alu 0xf1ff
	v_add_co_ci_u32_e64 v43, s0, v46, v20, s0
	v_lshlrev_b64_e32 v[19:20], 2, v[29:30]
	v_mov_b32_e32 v23, v27
	v_mad_co_u64_u32 v[27:28], null, s8, v6, 0
	s_delay_alu instid0(VALU_DEP_3) | instskip(NEXT) | instid1(VALU_DEP_3)
	v_add_co_u32 v29, s0, v37, v19
	v_lshlrev_b64_e32 v[21:22], 2, v[22:23]
	v_mad_co_u64_u32 v[23:24], null, s9, v38, v[5:6]
	s_wait_alu 0xf1ff
	v_add_co_ci_u32_e64 v30, s0, v46, v20, s0
	s_clause 0x7
	global_load_b32 v19, v[3:4], off
	global_load_b32 v41, v[15:16], off
	;; [unrolled: 1-line block ×8, first 2 shown]
	v_mov_b32_e32 v5, v28
	v_add_co_u32 v20, s0, v37, v21
	s_wait_alu 0xf1ff
	v_add_co_ci_u32_e64 v21, s0, v46, v22, s0
	v_mov_b32_e32 v36, v23
	v_mad_co_u64_u32 v[22:23], null, s9, v6, v[5:6]
	v_mad_co_u64_u32 v[23:24], null, s8, v14, 0
	global_load_b32 v30, v[20:21], off
	v_add_nc_u32_e32 v5, 0x7e, v9
	v_mad_co_u64_u32 v[20:21], null, s8, v10, 0
	v_mov_b32_e32 v28, v22
	v_lshlrev_b64_e32 v[15:16], 2, v[35:36]
	v_mov_b32_e32 v3, v24
	v_mad_co_u64_u32 v[33:34], null, s8, v5, 0
	s_delay_alu instid0(VALU_DEP_3) | instskip(SKIP_1) | instid1(VALU_DEP_4)
	v_add_co_u32 v15, s0, v37, v15
	s_wait_alu 0xf1ff
	v_add_co_ci_u32_e64 v16, s0, v46, v16, s0
	s_wait_loadcnt 0x5
	v_lshrrev_b32_e32 v43, 16, v38
	s_wait_loadcnt 0x4
	v_lshrrev_b32_e32 v42, 16, v40
	s_wait_loadcnt 0x3
	v_mad_co_u64_u32 v[17:18], null, s9, v14, v[3:4]
	v_mov_b32_e32 v3, v45
	s_wait_loadcnt 0x2
	v_lshrrev_b32_e32 v36, 16, v32
	s_wait_loadcnt 0x1
	v_lshrrev_b32_e32 v35, 16, v31
	v_mad_co_u64_u32 v[25:26], null, s9, v47, v[3:4]
	v_dual_mov_b32 v3, v21 :: v_dual_mov_b32 v24, v17
	v_lshlrev_b64_e32 v[21:22], 2, v[27:28]
	s_delay_alu instid0(VALU_DEP_2) | instskip(SKIP_2) | instid1(VALU_DEP_4)
	v_mad_co_u64_u32 v[17:18], null, s9, v10, v[3:4]
	v_mov_b32_e32 v3, v34
	v_mov_b32_e32 v45, v25
	v_add_co_u32 v25, s0, v37, v21
	s_wait_alu 0xf1ff
	v_add_co_ci_u32_e64 v26, s0, v46, v22, s0
	v_mad_co_u64_u32 v[27:28], null, s9, v5, v[3:4]
	v_lshlrev_b64_e32 v[22:23], 2, v[23:24]
	v_mov_b32_e32 v21, v17
	v_lshlrev_b64_e32 v[28:29], 2, v[44:45]
	v_lshrrev_b32_e32 v45, 16, v41
	v_lshrrev_b32_e32 v44, 16, v39
	;; [unrolled: 1-line block ×3, first 2 shown]
	v_mov_b32_e32 v34, v27
	v_add_co_u32 v17, s0, v37, v22
	v_lshlrev_b64_e32 v[20:21], 2, v[20:21]
	s_wait_alu 0xf1ff
	v_add_co_ci_u32_e64 v18, s0, v46, v23, s0
	v_add_co_u32 v22, s0, v37, v28
	v_lshlrev_b64_e32 v[27:28], 2, v[33:34]
	s_wait_alu 0xf1ff
	v_add_co_ci_u32_e64 v23, s0, v46, v29, s0
	v_add_co_u32 v33, s0, v37, v20
	s_wait_alu 0xf1ff
	v_add_co_ci_u32_e64 v34, s0, v46, v21, s0
	v_add_co_u32 v27, s0, v37, v27
	s_wait_alu 0xf1ff
	v_add_co_ci_u32_e64 v28, s0, v46, v28, s0
	s_clause 0x5
	global_load_b32 v37, v[15:16], off
	global_load_b32 v20, v[25:26], off
	;; [unrolled: 1-line block ×6, first 2 shown]
	v_dual_mov_b32 v18, v8 :: v_dual_mov_b32 v17, v7
	v_mov_b32_e32 v16, v6
	v_lshrrev_b32_e32 v27, 16, v19
	s_wait_loadcnt 0x6
	v_lshrrev_b32_e32 v33, 16, v30
	v_mov_b32_e32 v15, v12
	s_wait_loadcnt 0x5
	v_lshrrev_b32_e32 v34, 16, v37
	s_wait_loadcnt 0x4
	v_lshrrev_b32_e32 v3, 16, v20
	;; [unrolled: 2-line block ×6, first 2 shown]
.LBB0_12:
	s_or_b32 exec_lo, exec_lo, s1
	v_lshrrev_b32_e32 v46, 1, v2
	v_add_f16_e32 v47, v41, v19
	v_add_f16_e32 v48, v38, v39
	v_sub_f16_e32 v49, v45, v42
	v_add_f16_e32 v53, v40, v41
	v_mul_hi_u32 v46, 0x92492493, v46
	v_add_f16_e32 v47, v39, v47
	v_add_f16_e32 v56, v45, v27
	v_fma_f16 v48, -0.5, v48, v19
	v_sub_f16_e32 v50, v44, v43
	v_sub_f16_e32 v51, v41, v39
	v_add_f16_e32 v47, v38, v47
	v_sub_f16_e32 v52, v40, v38
	v_lshrrev_b32_e32 v46, 2, v46
	v_sub_f16_e32 v54, v39, v41
	v_sub_f16_e32 v55, v38, v40
	v_add_f16_e32 v57, v43, v44
	v_fmac_f16_e32 v19, -0.5, v53
	v_mul_lo_u32 v46, v46, 14
	v_fmamk_f16 v53, v49, 0x3b9c, v48
	v_fmac_f16_e32 v48, 0xbb9c, v49
	v_add_f16_e32 v51, v52, v51
	v_add_f16_e32 v52, v55, v54
	v_fmamk_f16 v54, v50, 0xbb9c, v19
	v_fmac_f16_e32 v19, 0x3b9c, v50
	v_fmac_f16_e32 v53, 0x38b4, v50
	v_sub_nc_u32_e32 v2, v2, v46
	v_add_f16_e32 v46, v40, v47
	v_add_f16_e32 v47, v44, v56
	v_fmac_f16_e32 v48, 0xb8b4, v50
	v_fma_f16 v50, -0.5, v57, v27
	v_sub_f16_e32 v40, v41, v40
	v_fmac_f16_e32 v54, 0x38b4, v49
	v_add_f16_e32 v41, v43, v47
	v_fmac_f16_e32 v53, 0x34f2, v51
	v_fmac_f16_e32 v48, 0x34f2, v51
	;; [unrolled: 1-line block ×3, first 2 shown]
	v_fmamk_f16 v47, v40, 0xbb9c, v50
	v_sub_f16_e32 v38, v39, v38
	v_sub_f16_e32 v39, v45, v44
	;; [unrolled: 1-line block ×3, first 2 shown]
	v_add_f16_e32 v51, v42, v45
	v_add_f16_e32 v41, v42, v41
	v_fmac_f16_e32 v50, 0x3b9c, v40
	v_sub_f16_e32 v44, v44, v45
	v_sub_f16_e32 v42, v43, v42
	v_add_f16_e32 v43, v30, v31
	v_fmac_f16_e32 v47, 0xb8b4, v38
	v_add_f16_e32 v39, v49, v39
	v_fmac_f16_e32 v27, -0.5, v51
	v_fmac_f16_e32 v50, 0x38b4, v38
	v_add_f16_e32 v42, v42, v44
	v_add_f16_e32 v44, v32, v4
	v_fma_f16 v43, -0.5, v43, v4
	v_sub_f16_e32 v49, v36, v34
	v_add_f16_e32 v56, v37, v32
	v_fmac_f16_e32 v54, 0x34f2, v52
	v_fmac_f16_e32 v19, 0x34f2, v52
	;; [unrolled: 1-line block ×3, first 2 shown]
	v_fmamk_f16 v45, v38, 0x3b9c, v27
	v_fmac_f16_e32 v50, 0x34f2, v39
	v_mul_f16_e32 v39, 0x34f2, v42
	v_add_f16_e32 v42, v31, v44
	v_fmamk_f16 v44, v49, 0x3b9c, v43
	v_sub_f16_e32 v51, v35, v33
	v_sub_f16_e32 v52, v32, v31
	;; [unrolled: 1-line block ×3, first 2 shown]
	v_fmac_f16_e32 v27, 0xbb9c, v38
	v_fmac_f16_e32 v4, -0.5, v56
	v_fmac_f16_e32 v43, 0xbb9c, v49
	v_add_f16_e32 v56, v36, v5
	v_fmac_f16_e32 v45, 0xb8b4, v40
	v_add_f16_e32 v38, v30, v42
	;; [unrolled: 2-line block ×3, first 2 shown]
	v_fmac_f16_e32 v27, 0x38b4, v40
	v_fmamk_f16 v40, v51, 0xbb9c, v4
	v_sub_f16_e32 v52, v31, v32
	v_sub_f16_e32 v55, v30, v37
	v_fmac_f16_e32 v43, 0xb8b4, v51
	v_add_f16_e32 v57, v33, v35
	v_fmac_f16_e32 v4, 0x3b9c, v51
	v_add_f16_e32 v51, v35, v56
	v_add_f16_e32 v38, v37, v38
	;; [unrolled: 1-line block ×3, first 2 shown]
	v_fma_f16 v55, -0.5, v57, v5
	v_sub_f16_e32 v32, v32, v37
	v_add_f16_e32 v37, v33, v51
	v_fmac_f16_e32 v44, 0x34f2, v42
	v_fmac_f16_e32 v40, 0x38b4, v49
	;; [unrolled: 1-line block ×4, first 2 shown]
	v_fmamk_f16 v42, v32, 0xbb9c, v55
	v_sub_f16_e32 v30, v31, v30
	v_sub_f16_e32 v31, v36, v35
	;; [unrolled: 1-line block ×3, first 2 shown]
	v_add_f16_e32 v51, v34, v36
	v_add_f16_e32 v37, v34, v37
	v_fmac_f16_e32 v55, 0x3b9c, v32
	v_sub_f16_e32 v35, v35, v36
	v_sub_f16_e32 v33, v33, v34
	v_add_f16_e32 v34, v25, v26
	v_fmac_f16_e32 v42, 0xb8b4, v30
	v_add_f16_e32 v31, v49, v31
	v_fmac_f16_e32 v5, -0.5, v51
	v_fmac_f16_e32 v55, 0x38b4, v30
	v_add_f16_e32 v33, v33, v35
	v_add_f16_e32 v35, v29, v20
	v_fma_f16 v34, -0.5, v34, v20
	v_sub_f16_e32 v49, v24, v21
	v_add_f16_e32 v57, v28, v29
	v_fmac_f16_e32 v40, 0x34f2, v52
	v_fmac_f16_e32 v4, 0x34f2, v52
	;; [unrolled: 1-line block ×3, first 2 shown]
	v_fmamk_f16 v36, v30, 0x3b9c, v5
	v_fmac_f16_e32 v55, 0x34f2, v31
	v_mul_f16_e32 v31, 0x34f2, v33
	v_add_f16_e32 v33, v26, v35
	v_fmamk_f16 v35, v49, 0x3b9c, v34
	v_sub_f16_e32 v51, v23, v22
	v_sub_f16_e32 v52, v29, v26
	v_sub_f16_e32 v56, v28, v25
	v_fmac_f16_e32 v5, 0xbb9c, v30
	v_fmac_f16_e32 v20, -0.5, v57
	v_fmac_f16_e32 v34, 0xbb9c, v49
	v_add_f16_e32 v57, v24, v3
	v_fmac_f16_e32 v36, 0xb8b4, v32
	v_add_f16_e32 v30, v25, v33
	;; [unrolled: 2-line block ×3, first 2 shown]
	v_fmac_f16_e32 v5, 0x38b4, v32
	v_fmamk_f16 v32, v51, 0xbb9c, v20
	v_sub_f16_e32 v52, v26, v29
	v_sub_f16_e32 v56, v25, v28
	v_fmac_f16_e32 v34, 0xb8b4, v51
	v_add_f16_e32 v58, v22, v23
	v_fmac_f16_e32 v20, 0x3b9c, v51
	v_add_f16_e32 v51, v23, v57
	v_mul_u32_u24_e32 v2, 0x87, v2
	v_add_f16_e32 v30, v28, v30
	v_fmac_f16_e32 v32, 0x38b4, v49
	v_add_f16_e32 v52, v56, v52
	v_fma_f16 v56, -0.5, v58, v3
	v_sub_f16_e32 v28, v29, v28
	v_fmac_f16_e32 v20, 0xb8b4, v49
	v_add_f16_e32 v29, v22, v51
	v_sub_f16_e32 v26, v26, v25
	v_sub_f16_e32 v25, v24, v23
	v_sub_f16_e32 v49, v21, v22
	v_add_f16_e32 v51, v21, v24
	v_fmac_f16_e32 v35, 0x34f2, v33
	v_fmac_f16_e32 v34, 0x34f2, v33
	v_fmamk_f16 v33, v28, 0xbb9c, v56
	v_add_f16_e32 v29, v21, v29
	v_add_f16_e32 v49, v49, v25
	v_fmac_f16_e32 v56, 0x3b9c, v28
	v_fmac_f16_e32 v3, -0.5, v51
	v_sub_f16_e32 v23, v23, v24
	v_sub_f16_e32 v21, v22, v21
	v_lshlrev_b32_e32 v25, 1, v2
	v_fmac_f16_e32 v33, 0xb8b4, v26
	v_fmac_f16_e32 v56, 0x38b4, v26
	v_fmamk_f16 v2, v26, 0x3b9c, v3
	v_add_f16_e32 v21, v21, v23
	v_fmac_f16_e32 v3, 0xbb9c, v26
	v_add_nc_u32_e32 v26, 0, v25
	v_fmac_f16_e32 v32, 0x34f2, v52
	v_fmac_f16_e32 v20, 0x34f2, v52
	;; [unrolled: 1-line block ×4, first 2 shown]
	v_mul_f16_e32 v49, 0x34f2, v21
	v_mad_u32_u24 v51, v9, 10, v26
	v_pack_b32_f16 v22, v54, v19
	v_pack_b32_f16 v21, v46, v53
	v_fmac_f16_e32 v2, 0xb8b4, v28
	v_fmac_f16_e32 v3, 0x38b4, v28
	v_mad_i32_i24 v46, v15, 10, v26
	v_pack_b32_f16 v24, v40, v4
	v_pack_b32_f16 v23, v38, v44
	v_lshlrev_b32_e32 v4, 1, v9
	v_pack_b32_f16 v27, v45, v27
	v_mad_i32_i24 v38, v16, 10, v26
	v_pack_b32_f16 v20, v32, v20
	v_pack_b32_f16 v19, v30, v35
	ds_store_b64 v51, v[21:22]
	ds_store_b16 v51, v48 offset:8
	ds_store_b64 v46, v[23:24]
	ds_store_b16 v46, v43 offset:8
	;; [unrolled: 2-line block ×3, first 2 shown]
	v_lshlrev_b32_e32 v22, 3, v16
	v_pack_b32_f16 v5, v36, v5
	v_pack_b32_f16 v30, v2, v3
	v_lshlrev_b32_e32 v21, 3, v15
	v_add3_u32 v19, 0, v4, v25
	v_add_nc_u32_e32 v20, v26, v4
	v_pk_add_f16 v3, v39, v27 op_sel_hi:[0,1]
	v_pack_b32_f16 v2, v41, v47
	v_sub_nc_u32_e32 v22, v38, v22
	v_pk_add_f16 v28, v31, v5 op_sel_hi:[0,1]
	v_pack_b32_f16 v27, v37, v42
	v_lshl_add_u32 v23, v17, 1, v26
	v_lshl_add_u32 v24, v18, 1, v26
	v_pk_add_f16 v30, v49, v30 op_sel_hi:[0,1]
	v_pack_b32_f16 v29, v29, v33
	global_wb scope:SCOPE_SE
	s_wait_dscnt 0x0
	s_barrier_signal -1
	s_barrier_wait -1
	global_inv scope:SCOPE_SE
	v_sub_nc_u32_e32 v21, v46, v21
	ds_load_u16 v40, v19 offset:198
	ds_load_u16 v43, v20
	ds_load_u16 v44, v19 offset:90
	ds_load_u16 v48, v19 offset:108
	ds_load_u16 v52, v19 offset:126
	ds_load_u16 v53, v19 offset:144
	ds_load_u16 v54, v19 offset:216
	ds_load_u16 v57, v19 offset:234
	ds_load_u16 v58, v22
	ds_load_u16 v59, v23
	;; [unrolled: 1-line block ×3, first 2 shown]
	ds_load_u16 v61, v19 offset:180
	ds_load_u16 v62, v19 offset:162
	ds_load_u16 v63, v21
	ds_load_u16 v64, v19 offset:252
	global_wb scope:SCOPE_SE
	s_wait_dscnt 0x0
	s_barrier_signal -1
	s_barrier_wait -1
	global_inv scope:SCOPE_SE
	ds_store_b64 v51, v[2:3]
	ds_store_b16 v51, v50 offset:8
	ds_store_b64 v46, v[27:28]
	ds_store_b16 v46, v55 offset:8
	;; [unrolled: 2-line block ×3, first 2 shown]
	v_and_b32_e32 v3, 0xff, v16
	v_and_b32_e32 v2, 0xff, v15
	;; [unrolled: 1-line block ×4, first 2 shown]
	v_add_nc_u32_e32 v5, -5, v9
	v_mul_lo_u16 v3, 0xcd, v3
	v_mul_lo_u16 v2, 0xcd, v2
	v_cmp_gt_u32_e64 s0, 5, v9
	v_mul_lo_u16 v27, 0xcd, v38
	global_wb scope:SCOPE_SE
	s_wait_dscnt 0x0
	v_lshrrev_b16 v41, 10, v3
	v_mul_lo_u16 v3, 0xcd, v37
	s_wait_alu 0xf1ff
	v_cndmask_b32_e64 v5, v5, v9, s0
	v_lshrrev_b16 v39, 10, v2
	v_lshrrev_b16 v45, 10, v27
	v_mul_lo_u16 v28, v41, 5
	v_lshrrev_b16 v42, 10, v3
	v_lshlrev_b32_e32 v2, 1, v5
	v_mul_lo_u16 v5, v39, 5
	v_mov_b32_e32 v3, 0
	v_sub_nc_u16 v29, v16, v28
	v_mul_lo_u16 v30, v42, 5
	v_mul_lo_u16 v31, v45, 5
	v_sub_nc_u16 v5, v15, v5
	v_lshlrev_b64_e32 v[27:28], 2, v[2:3]
	v_and_b32_e32 v46, 0xff, v29
	v_sub_nc_u16 v29, v17, v30
	v_sub_nc_u16 v30, v18, v31
	v_and_b32_e32 v5, 0xff, v5
	s_barrier_signal -1
	v_add_co_u32 v27, s0, s4, v27
	v_and_b32_e32 v47, 0xff, v29
	v_and_b32_e32 v49, 0xff, v30
	s_wait_alu 0xf1ff
	v_add_co_ci_u32_e64 v28, s0, s5, v28, s0
	v_lshlrev_b32_e32 v29, 3, v5
	v_lshlrev_b32_e32 v31, 3, v46
	;; [unrolled: 1-line block ×4, first 2 shown]
	s_barrier_wait -1
	global_inv scope:SCOPE_SE
	s_clause 0x4
	global_load_b64 v[27:28], v[27:28], off
	global_load_b64 v[29:30], v29, s[4:5]
	global_load_b64 v[31:32], v31, s[4:5]
	;; [unrolled: 1-line block ×4, first 2 shown]
	ds_load_u16 v50, v19 offset:180
	ds_load_u16 v51, v19 offset:198
	ds_load_u16 v55, v20
	ds_load_u16 v56, v19 offset:90
	ds_load_u16 v65, v19 offset:108
	;; [unrolled: 1-line block ×6, first 2 shown]
	ds_load_u16 v70, v22
	ds_load_u16 v71, v23
	;; [unrolled: 1-line block ×3, first 2 shown]
	ds_load_u16 v73, v19 offset:162
	ds_load_u16 v74, v21
	ds_load_u16 v75, v19 offset:252
	v_cmp_lt_u32_e64 s0, 4, v9
	v_and_b32_e32 v39, 0xffff, v39
	v_lshlrev_b32_e32 v5, 1, v5
	v_and_b32_e32 v41, 0xffff, v41
	v_lshlrev_b32_e32 v46, 1, v46
	v_lshlrev_b32_e32 v47, 1, v47
	v_mad_u32_u24 v39, v39, 30, 0
	global_wb scope:SCOPE_SE
	s_wait_loadcnt_dscnt 0x0
	s_barrier_signal -1
	s_barrier_wait -1
	global_inv scope:SCOPE_SE
	v_add3_u32 v5, v39, v5, v25
	v_and_b32_e32 v39, 0xffff, v42
	v_lshlrev_b32_e32 v49, 1, v49
	v_lshrrev_b32_e32 v76, 16, v27
	v_lshrrev_b32_e32 v77, 16, v28
	;; [unrolled: 1-line block ×10, first 2 shown]
	v_mul_f16_e32 v86, v56, v76
	v_mul_f16_e32 v76, v44, v76
	;; [unrolled: 1-line block ×20, first 2 shown]
	v_fma_f16 v44, v44, v27, -v86
	v_fmac_f16_e32 v76, v56, v27
	v_fma_f16 v27, v61, v28, -v87
	v_fmac_f16_e32 v78, v65, v29
	v_fmac_f16_e32 v82, v67, v33
	;; [unrolled: 1-line block ×4, first 2 shown]
	v_fma_f16 v28, v48, v29, -v88
	v_fma_f16 v29, v40, v30, -v89
	v_fmac_f16_e32 v79, v51, v30
	v_fma_f16 v30, v52, v31, -v90
	v_fmac_f16_e32 v80, v66, v31
	;; [unrolled: 2-line block ×3, first 2 shown]
	v_fma_f16 v32, v53, v33, -v92
	v_fma_f16 v33, v57, v34, -v93
	;; [unrolled: 1-line block ×3, first 2 shown]
	v_fmac_f16_e32 v84, v73, v35
	v_fma_f16 v35, v64, v36, -v95
	v_fmac_f16_e32 v85, v75, v36
	v_add_f16_e32 v40, v44, v27
	v_add_f16_e32 v56, v74, v78
	;; [unrolled: 1-line block ×10, first 2 shown]
	v_sub_f16_e32 v32, v32, v33
	v_fmac_f16_e32 v43, -0.5, v40
	v_add_f16_e32 v40, v56, v79
	v_fmac_f16_e32 v71, -0.5, v75
	v_add_f16_e32 v56, v34, v35
	v_sub_f16_e32 v30, v30, v31
	v_fmac_f16_e32 v74, -0.5, v57
	v_add_f16_e32 v31, v61, v31
	v_fmac_f16_e32 v58, -0.5, v62
	v_fmamk_f16 v57, v32, 0xbaee, v71
	v_fmac_f16_e32 v71, 0x3aee, v32
	v_add_f16_e32 v32, v84, v85
	v_add_f16_e32 v61, v60, v34
	v_fmac_f16_e32 v60, -0.5, v56
	v_sub_f16_e32 v56, v84, v85
	v_add_f16_e32 v62, v72, v84
	v_fmac_f16_e32 v72, -0.5, v32
	v_sub_f16_e32 v32, v34, v35
	v_add_f16_e32 v34, v61, v35
	v_fmamk_f16 v35, v56, 0x3aee, v60
	v_fmac_f16_e32 v60, 0xbaee, v56
	v_add_f16_e32 v56, v62, v85
	s_wait_alu 0xf1ff
	v_cndmask_b32_e64 v62, 0, 30, s0
	v_fmamk_f16 v61, v32, 0xbaee, v72
	v_fmac_f16_e32 v72, 0x3aee, v32
	v_sub_f16_e32 v48, v76, v77
	v_add_f16_e32 v51, v76, v77
	v_add_nc_u32_e32 v32, 0, v62
	v_add_f16_e32 v53, v28, v29
	v_sub_f16_e32 v44, v44, v27
	v_add_f16_e32 v52, v63, v28
	v_add_f16_e32 v27, v36, v27
	v_add3_u32 v2, v32, v2, v25
	v_mad_u32_u24 v32, v41, 30, 0
	v_add_f16_e32 v50, v55, v76
	v_sub_f16_e32 v54, v78, v79
	v_add_f16_e32 v66, v80, v81
	v_fmac_f16_e32 v55, -0.5, v51
	v_fmac_f16_e32 v63, -0.5, v53
	v_fmamk_f16 v51, v48, 0x3aee, v43
	v_fmac_f16_e32 v43, 0xbaee, v48
	v_and_b32_e32 v41, 0xffff, v45
	v_sub_f16_e32 v28, v28, v29
	v_sub_f16_e32 v64, v80, v81
	v_add_f16_e32 v29, v52, v29
	ds_store_b16 v2, v27
	ds_store_b16 v2, v51 offset:10
	ds_store_b16 v2, v43 offset:20
	v_add3_u32 v27, v32, v46, v25
	v_mad_u32_u24 v32, v39, 30, 0
	v_add_f16_e32 v65, v70, v80
	v_sub_f16_e32 v69, v82, v83
	v_fmac_f16_e32 v70, -0.5, v66
	v_fmac_f16_e32 v59, -0.5, v68
	v_fmamk_f16 v48, v44, 0xbaee, v55
	v_fmac_f16_e32 v55, 0x3aee, v44
	v_fmamk_f16 v44, v54, 0x3aee, v63
	v_add_f16_e32 v36, v50, v77
	v_fmac_f16_e32 v63, 0xbaee, v54
	v_mad_u32_u24 v39, v41, 30, 0
	v_fmamk_f16 v52, v28, 0xbaee, v74
	v_fmac_f16_e32 v74, 0x3aee, v28
	v_fmamk_f16 v28, v64, 0x3aee, v58
	v_fmac_f16_e32 v58, 0xbaee, v64
	v_add_f16_e32 v33, v67, v33
	ds_store_b16 v5, v29
	ds_store_b16 v5, v44 offset:10
	ds_store_b16 v5, v63 offset:20
	v_add3_u32 v29, v32, v47, v25
	v_fmamk_f16 v53, v30, 0xbaee, v70
	v_fmac_f16_e32 v70, 0x3aee, v30
	v_fmamk_f16 v30, v69, 0x3aee, v59
	v_fmac_f16_e32 v59, 0xbaee, v69
	v_add_f16_e32 v50, v65, v81
	v_add_f16_e32 v54, v73, v83
	v_add3_u32 v32, v39, v49, v25
	ds_store_b16 v27, v31
	ds_store_b16 v27, v28 offset:10
	ds_store_b16 v27, v58 offset:20
	ds_store_b16 v29, v33
	ds_store_b16 v29, v30 offset:10
	ds_store_b16 v29, v59 offset:20
	;; [unrolled: 3-line block ×3, first 2 shown]
	global_wb scope:SCOPE_SE
	s_wait_dscnt 0x0
	s_barrier_signal -1
	s_barrier_wait -1
	global_inv scope:SCOPE_SE
	ds_load_u16 v39, v19 offset:198
	ds_load_u16 v41, v20
	ds_load_u16 v42, v19 offset:90
	ds_load_u16 v43, v19 offset:108
	;; [unrolled: 1-line block ×6, first 2 shown]
	ds_load_u16 v49, v22
	ds_load_u16 v51, v23
	ds_load_u16 v58, v24
	ds_load_u16 v59, v19 offset:180
	ds_load_u16 v60, v19 offset:162
	ds_load_u16 v62, v21
	ds_load_u16 v63, v19 offset:252
	global_wb scope:SCOPE_SE
	s_wait_dscnt 0x0
	s_barrier_signal -1
	s_barrier_wait -1
	global_inv scope:SCOPE_SE
	ds_store_b16 v2, v36
	ds_store_b16 v2, v48 offset:10
	ds_store_b16 v2, v55 offset:20
	ds_store_b16 v5, v40
	ds_store_b16 v5, v52 offset:10
	ds_store_b16 v5, v74 offset:20
	;; [unrolled: 3-line block ×4, first 2 shown]
	v_add_nc_u32_e32 v2, -6, v9
	v_cmp_gt_u32_e64 s0, 6, v9
	v_mul_lo_u16 v29, 0x89, v37
	v_mov_b32_e32 v5, v3
	v_mul_lo_u16 v30, 0x89, v38
	ds_store_b16 v32, v56
	ds_store_b16 v32, v61 offset:10
	ds_store_b16 v32, v72 offset:20
	s_wait_alu 0xf1ff
	v_cndmask_b32_e64 v2, v2, v15, s0
	v_lshrrev_b16 v37, 11, v29
	v_lshlrev_b64_e32 v[27:28], 2, v[4:5]
	v_lshrrev_b16 v5, 11, v30
	v_add_nc_u32_e32 v31, 6, v4
	v_lshlrev_b32_e32 v2, 1, v2
	v_mov_b32_e32 v32, v3
	v_mul_lo_u16 v33, v37, 15
	v_mul_lo_u16 v34, v5, 15
	v_add_co_u32 v4, s0, s4, v27
	v_lshlrev_b64_e32 v[29:30], 2, v[2:3]
	s_wait_alu 0xf1ff
	v_add_co_ci_u32_e64 v5, s0, s5, v28, s0
	v_lshlrev_b64_e32 v[27:28], 2, v[31:32]
	v_sub_nc_u16 v31, v17, v33
	v_sub_nc_u16 v32, v18, v34
	v_add_co_u32 v29, s0, s4, v29
	s_wait_alu 0xf1ff
	v_add_co_ci_u32_e64 v30, s0, s5, v30, s0
	v_and_b32_e32 v38, 0xff, v31
	v_and_b32_e32 v40, 0xff, v32
	v_add_co_u32 v27, s0, s4, v27
	s_wait_alu 0xf1ff
	v_add_co_ci_u32_e64 v28, s0, s5, v28, s0
	v_lshlrev_b32_e32 v33, 3, v38
	global_wb scope:SCOPE_SE
	s_wait_dscnt 0x0
	s_barrier_signal -1
	s_barrier_wait -1
	global_inv scope:SCOPE_SE
	s_clause 0x1
	global_load_b64 v[31:32], v[4:5], off offset:40
	global_load_b64 v[29:30], v[29:30], off offset:40
	v_lshlrev_b32_e32 v35, 3, v40
	s_clause 0x2
	global_load_b64 v[27:28], v[27:28], off offset:40
	global_load_b64 v[33:34], v33, s[4:5] offset:40
	global_load_b64 v[35:36], v35, s[4:5] offset:40
	v_cmp_lt_u32_e64 s0, 5, v9
	v_and_b32_e32 v37, 0xffff, v37
	v_lshlrev_b32_e32 v38, 1, v38
	v_lshl_add_u32 v40, v40, 1, v26
	s_wait_alu 0xf1ff
	v_cndmask_b32_e64 v48, 0, 0x5a, s0
	v_mad_u32_u24 v37, 0x5a, v37, 0
	s_delay_alu instid0(VALU_DEP_2) | instskip(NEXT) | instid1(VALU_DEP_2)
	v_add_nc_u32_e32 v48, 0, v48
	v_add3_u32 v50, v37, v38, v25
	s_delay_alu instid0(VALU_DEP_2)
	v_add3_u32 v2, v48, v2, v25
	ds_load_u16 v25, v19 offset:198
	ds_load_u16 v48, v20
	ds_load_u16 v26, v19 offset:90
	ds_load_u16 v37, v19 offset:108
	;; [unrolled: 1-line block ×6, first 2 shown]
	ds_load_u16 v55, v22
	ds_load_u16 v56, v23
	;; [unrolled: 1-line block ×3, first 2 shown]
	ds_load_u16 v61, v19 offset:180
	ds_load_u16 v64, v19 offset:162
	ds_load_u16 v65, v21
	ds_load_u16 v66, v19 offset:252
	global_wb scope:SCOPE_SE
	s_wait_loadcnt_dscnt 0x0
	s_barrier_signal -1
	s_barrier_wait -1
	global_inv scope:SCOPE_SE
	v_lshrrev_b32_e32 v67, 16, v31
	v_lshrrev_b32_e32 v68, 16, v32
	;; [unrolled: 1-line block ×10, first 2 shown]
	v_mul_f16_e32 v77, v26, v67
	v_mul_f16_e32 v67, v42, v67
	;; [unrolled: 1-line block ×20, first 2 shown]
	v_fma_f16 v42, v42, v31, -v77
	v_fmac_f16_e32 v67, v26, v31
	v_fma_f16 v26, v59, v32, -v78
	v_fmac_f16_e32 v68, v61, v32
	;; [unrolled: 2-line block ×8, first 2 shown]
	v_fma_f16 v32, v60, v35, -v85
	v_fma_f16 v33, v63, v36, -v86
	v_fmac_f16_e32 v75, v64, v35
	v_fmac_f16_e32 v76, v66, v36
	v_add_f16_e32 v35, v42, v26
	v_add_f16_e32 v43, v31, v29
	v_sub_f16_e32 v44, v69, v70
	v_add_f16_e32 v45, v65, v69
	v_add_f16_e32 v46, v69, v70
	;; [unrolled: 1-line block ×9, first 2 shown]
	v_sub_f16_e32 v53, v71, v72
	v_add_f16_e32 v54, v55, v71
	v_sub_f16_e32 v63, v73, v74
	v_add_f16_e32 v64, v56, v73
	;; [unrolled: 2-line block ×3, first 2 shown]
	v_add_f16_e32 v75, v75, v76
	v_sub_f16_e32 v36, v67, v68
	v_fmac_f16_e32 v41, -0.5, v35
	v_sub_f16_e32 v39, v42, v26
	v_add_f16_e32 v42, v62, v31
	v_add_f16_e32 v37, v48, v67
	v_sub_f16_e32 v31, v31, v29
	v_add_f16_e32 v47, v49, v25
	v_sub_f16_e32 v25, v25, v27
	;; [unrolled: 2-line block ×3, first 2 shown]
	v_add_f16_e32 v67, v58, v32
	v_fmac_f16_e32 v62, -0.5, v43
	v_fmac_f16_e32 v65, -0.5, v46
	;; [unrolled: 1-line block ×7, first 2 shown]
	v_sub_f16_e32 v32, v32, v33
	v_add_f16_e32 v26, v34, v26
	v_fmac_f16_e32 v48, -0.5, v38
	v_fmac_f16_e32 v57, -0.5, v75
	v_fmamk_f16 v34, v36, 0x3aee, v41
	v_fmac_f16_e32 v41, 0xbaee, v36
	v_add_f16_e32 v29, v42, v29
	v_add_f16_e32 v27, v47, v27
	;; [unrolled: 1-line block ×4, first 2 shown]
	v_fmamk_f16 v35, v44, 0x3aee, v62
	v_fmac_f16_e32 v62, 0xbaee, v44
	v_fmamk_f16 v44, v31, 0xbaee, v65
	v_fmac_f16_e32 v65, 0x3aee, v31
	;; [unrolled: 2-line block ×4, first 2 shown]
	v_fmamk_f16 v25, v63, 0x3aee, v51
	v_fmamk_f16 v53, v28, 0xbaee, v56
	v_fmac_f16_e32 v56, 0x3aee, v28
	v_fmamk_f16 v28, v71, 0x3aee, v58
	v_add_f16_e32 v68, v37, v68
	v_add_f16_e32 v43, v54, v72
	v_fmamk_f16 v47, v39, 0xbaee, v48
	v_fmac_f16_e32 v48, 0x3aee, v39
	v_fmac_f16_e32 v51, 0xbaee, v63
	;; [unrolled: 1-line block ×3, first 2 shown]
	v_fmamk_f16 v54, v32, 0xbaee, v57
	v_fmac_f16_e32 v57, 0x3aee, v32
	ds_store_b16 v19, v26
	ds_store_b16 v19, v34 offset:30
	ds_store_b16 v19, v41 offset:60
	ds_store_b16 v2, v29
	ds_store_b16 v2, v35 offset:30
	ds_store_b16 v2, v62 offset:60
	;; [unrolled: 1-line block ×5, first 2 shown]
	ds_store_b16 v50, v30
	ds_store_b16 v50, v25 offset:30
	ds_store_b16 v50, v51 offset:60
	;; [unrolled: 1-line block ×5, first 2 shown]
	global_wb scope:SCOPE_SE
	s_wait_dscnt 0x0
	s_barrier_signal -1
	s_barrier_wait -1
	global_inv scope:SCOPE_SE
	ds_load_u16 v25, v20
	ds_load_u16 v30, v19 offset:90
	ds_load_u16 v28, v19 offset:108
	ds_load_u16 v32, v19 offset:126
	ds_load_u16 v36, v19 offset:144
	ds_load_u16 v29, v19 offset:198
	ds_load_u16 v34, v19 offset:216
	ds_load_u16 v37, v19 offset:234
	ds_load_u16 v27, v22
	ds_load_u16 v31, v23
	;; [unrolled: 1-line block ×3, first 2 shown]
	ds_load_u16 v33, v19 offset:180
	ds_load_u16 v38, v19 offset:162
	ds_load_u16 v26, v21
	ds_load_u16 v39, v19 offset:252
	v_add_f16_e32 v42, v45, v70
	v_add_f16_e32 v45, v64, v74
	;; [unrolled: 1-line block ×3, first 2 shown]
	global_wb scope:SCOPE_SE
	s_wait_dscnt 0x0
	s_barrier_signal -1
	s_barrier_wait -1
	global_inv scope:SCOPE_SE
	ds_store_b16 v19, v68
	ds_store_b16 v19, v47 offset:30
	ds_store_b16 v19, v48 offset:60
	ds_store_b16 v2, v42
	ds_store_b16 v2, v44 offset:30
	ds_store_b16 v2, v65 offset:60
	;; [unrolled: 1-line block ×5, first 2 shown]
	ds_store_b16 v50, v45
	ds_store_b16 v50, v53 offset:30
	ds_store_b16 v50, v56 offset:60
	;; [unrolled: 1-line block ×5, first 2 shown]
	global_wb scope:SCOPE_SE
	s_wait_dscnt 0x0
	s_barrier_signal -1
	s_barrier_wait -1
	global_inv scope:SCOPE_SE
	s_and_saveexec_b32 s0, vcc_lo
	s_cbranch_execz .LBB0_14
; %bb.13:
	v_lshlrev_b32_e32 v2, 1, v18
	v_mul_hi_u32 v52, 0x6c16c16d, v8
	v_mul_hi_u32 v50, 0x6c16c16d, v6
	;; [unrolled: 1-line block ×3, first 2 shown]
	v_mad_co_u64_u32 v[44:45], null, s8, v10, 0
	v_lshlrev_b64_e32 v[40:41], 2, v[2:3]
	v_lshlrev_b32_e32 v2, 1, v17
	v_sub_nc_u32_e32 v55, v8, v52
	v_sub_nc_u32_e32 v53, v6, v50
	v_sub_nc_u32_e32 v54, v7, v51
	v_add_co_u32 v17, vcc_lo, s4, v40
	s_wait_alu 0xfffd
	v_add_co_ci_u32_e32 v18, vcc_lo, s5, v41, vcc_lo
	v_lshlrev_b64_e32 v[40:41], 2, v[2:3]
	v_lshlrev_b32_e32 v2, 1, v16
	global_load_b64 v[17:18], v[17:18], off offset:160
	v_lshlrev_b64_e32 v[42:43], 2, v[2:3]
	v_lshlrev_b32_e32 v2, 1, v15
	v_add_co_u32 v40, vcc_lo, s4, v40
	s_wait_alu 0xfffd
	v_add_co_ci_u32_e32 v41, vcc_lo, s5, v41, vcc_lo
	s_delay_alu instid0(VALU_DEP_3)
	v_lshlrev_b64_e32 v[2:3], 2, v[2:3]
	v_add_co_u32 v42, vcc_lo, s4, v42
	s_wait_alu 0xfffd
	v_add_co_ci_u32_e32 v43, vcc_lo, s5, v43, vcc_lo
	global_load_b64 v[40:41], v[40:41], off offset:160
	v_add_co_u32 v2, vcc_lo, s4, v2
	s_wait_alu 0xfffd
	v_add_co_ci_u32_e32 v3, vcc_lo, s5, v3, vcc_lo
	s_clause 0x1
	global_load_b64 v[15:16], v[42:43], off offset:160
	global_load_b64 v[4:5], v[4:5], off offset:160
	v_add_co_u32 v80, vcc_lo, s10, v0
	global_load_b64 v[2:3], v[2:3], off offset:160
	ds_load_u16 v65, v19 offset:108
	ds_load_u16 v66, v19 offset:126
	;; [unrolled: 1-line block ×6, first 2 shown]
	ds_load_u16 v71, v24
	ds_load_u16 v72, v23
	;; [unrolled: 1-line block ×4, first 2 shown]
	ds_load_u16 v75, v19 offset:252
	ds_load_u16 v76, v19 offset:234
	;; [unrolled: 1-line block ×4, first 2 shown]
	ds_load_u16 v79, v20
	v_mad_co_u64_u32 v[19:20], null, s8, v9, 0
	v_mad_co_u64_u32 v[21:22], null, s8, v13, 0
	s_wait_alu 0xfffd
	v_add_co_ci_u32_e32 v81, vcc_lo, s11, v1, vcc_lo
	v_mad_co_u64_u32 v[0:1], null, s8, v14, 0
	v_mad_co_u64_u32 v[23:24], null, s8, v12, 0
	s_delay_alu instid0(VALU_DEP_4) | instskip(SKIP_1) | instid1(VALU_DEP_2)
	v_mad_co_u64_u32 v[46:47], null, s9, v9, v[20:21]
	v_mad_co_u64_u32 v[42:43], null, s8, v11, 0
	;; [unrolled: 1-line block ×3, first 2 shown]
	s_delay_alu instid0(VALU_DEP_1)
	v_dual_mov_b32 v20, v46 :: v_dual_mov_b32 v45, v9
	s_wait_loadcnt 0x0
	v_mad_co_u64_u32 v[47:48], null, s9, v14, v[1:2]
	v_mad_co_u64_u32 v[13:14], null, s9, v13, v[22:23]
	v_lshrrev_b32_e32 v14, 1, v55
	v_mad_co_u64_u32 v[48:49], null, s9, v12, v[24:25]
	v_lshrrev_b32_e32 v1, 1, v53
	v_mad_co_u64_u32 v[11:12], null, s9, v11, v[43:44]
	s_delay_alu instid0(VALU_DEP_4) | instskip(SKIP_1) | instid1(VALU_DEP_4)
	v_add_nc_u32_e32 v14, v14, v52
	v_lshrrev_b32_e32 v12, 1, v54
	v_add_nc_u32_e32 v10, v1, v50
	v_dual_mov_b32 v24, v48 :: v_dual_mov_b32 v1, v47
	s_delay_alu instid0(VALU_DEP_4) | instskip(SKIP_1) | instid1(VALU_DEP_4)
	v_lshrrev_b32_e32 v48, 5, v14
	v_mov_b32_e32 v43, v11
	v_lshrrev_b32_e32 v46, 5, v10
	s_delay_alu instid0(VALU_DEP_4) | instskip(NEXT) | instid1(VALU_DEP_4)
	v_lshlrev_b64_e32 v[0:1], 2, v[0:1]
	v_mad_u32_u24 v59, 0x5a, v48, v8
	s_delay_alu instid0(VALU_DEP_3) | instskip(NEXT) | instid1(VALU_DEP_2)
	v_mad_u32_u24 v56, 0x5a, v46, v6
	v_add_nc_u32_e32 v82, 0x5a, v59
	v_add_nc_u32_e32 v64, 45, v59
	s_delay_alu instid0(VALU_DEP_3)
	v_add_nc_u32_e32 v61, 0x5a, v56
	v_lshlrev_b64_e32 v[9:10], 2, v[19:20]
	v_lshlrev_b64_e32 v[19:20], 2, v[42:43]
	v_mad_co_u64_u32 v[54:55], null, s8, v82, 0
	v_add_nc_u32_e32 v12, v12, v51
	v_add_nc_u32_e32 v60, 45, v56
	v_add_co_u32 v6, vcc_lo, v80, v9
	v_mad_co_u64_u32 v[42:43], null, s8, v59, 0
	s_delay_alu instid0(VALU_DEP_4) | instskip(NEXT) | instid1(VALU_DEP_1)
	v_lshrrev_b32_e32 v47, 5, v12
	v_mad_u32_u24 v58, 0x5a, v47, v7
	v_mov_b32_e32 v22, v13
	s_wait_alu 0xfffd
	v_add_co_ci_u32_e32 v7, vcc_lo, v81, v10, vcc_lo
	v_lshlrev_b64_e32 v[13:14], 2, v[23:24]
	v_add_nc_u32_e32 v63, 0x5a, v58
	v_lshlrev_b64_e32 v[11:12], 2, v[21:22]
	v_add_co_u32 v0, vcc_lo, v80, v0
	s_wait_alu 0xfffd
	v_add_co_ci_u32_e32 v1, vcc_lo, v81, v1, vcc_lo
	v_lshlrev_b64_e32 v[21:22], 2, v[44:45]
	s_delay_alu instid0(VALU_DEP_4)
	v_add_co_u32 v8, vcc_lo, v80, v11
	s_wait_alu 0xfffd
	v_add_co_ci_u32_e32 v9, vcc_lo, v81, v12, vcc_lo
	v_add_co_u32 v10, vcc_lo, v80, v13
	s_wait_alu 0xfffd
	v_add_co_ci_u32_e32 v11, vcc_lo, v81, v14, vcc_lo
	;; [unrolled: 3-line block ×4, first 2 shown]
	v_mad_co_u64_u32 v[21:22], null, s8, v56, 0
	v_mad_co_u64_u32 v[23:24], null, s8, v58, 0
	v_add_nc_u32_e32 v62, 45, v58
	v_mad_co_u64_u32 v[44:45], null, s8, v60, 0
	v_mad_co_u64_u32 v[46:47], null, s8, v61, 0
	s_delay_alu instid0(VALU_DEP_3)
	v_mad_co_u64_u32 v[48:49], null, s8, v62, 0
	v_mad_co_u64_u32 v[50:51], null, s8, v63, 0
	v_mov_b32_e32 v14, v22
	v_mov_b32_e32 v22, v24
	v_dual_mov_b32 v24, v43 :: v_dual_mov_b32 v43, v47
	v_mov_b32_e32 v47, v55
	s_delay_alu instid0(VALU_DEP_4) | instskip(SKIP_4) | instid1(VALU_DEP_4)
	v_mad_co_u64_u32 v[56:57], null, s9, v56, v[14:15]
	v_mov_b32_e32 v14, v45
	v_mad_co_u64_u32 v[57:58], null, s9, v58, v[22:23]
	v_dual_mov_b32 v22, v49 :: v_dual_mov_b32 v45, v51
	v_mad_co_u64_u32 v[58:59], null, s9, v59, v[24:25]
	v_mad_co_u64_u32 v[59:60], null, s9, v60, v[14:15]
	;; [unrolled: 1-line block ×3, first 2 shown]
	s_delay_alu instid0(VALU_DEP_4)
	v_mad_co_u64_u32 v[61:62], null, s9, v62, v[22:23]
	v_mad_co_u64_u32 v[62:63], null, s9, v63, v[45:46]
	v_mov_b32_e32 v22, v56
	v_lshrrev_b32_e32 v14, 16, v17
	v_mov_b32_e32 v43, v58
	v_mov_b32_e32 v45, v59
	v_lshrrev_b32_e32 v59, 16, v40
	v_mov_b32_e32 v49, v61
	v_mov_b32_e32 v51, v62
	v_mad_co_u64_u32 v[52:53], null, s8, v64, 0
	v_lshrrev_b32_e32 v61, 16, v4
	v_lshrrev_b32_e32 v62, 16, v5
	v_lshlrev_b64_e32 v[21:22], 2, v[21:22]
	v_lshlrev_b64_e32 v[42:43], 2, v[42:43]
	;; [unrolled: 1-line block ×4, first 2 shown]
	v_mov_b32_e32 v24, v53
	v_add_co_u32 v21, vcc_lo, v80, v21
	s_wait_alu 0xfffd
	v_add_co_ci_u32_e32 v22, vcc_lo, v81, v22, vcc_lo
	s_delay_alu instid0(VALU_DEP_3) | instskip(SKIP_4) | instid1(VALU_DEP_3)
	v_mad_co_u64_u32 v[63:64], null, s9, v64, v[24:25]
	v_mov_b32_e32 v24, v57
	s_wait_dscnt 0xa
	v_mul_f16_e32 v57, v69, v14
	v_mul_f16_e32 v14, v38, v14
	v_lshlrev_b64_e32 v[23:24], 2, v[23:24]
	v_mov_b32_e32 v53, v63
	v_mad_co_u64_u32 v[55:56], null, s9, v82, v[47:48]
	v_mov_b32_e32 v47, v60
	v_lshrrev_b32_e32 v56, 16, v18
	v_lshrrev_b32_e32 v60, 16, v41
	v_fma_f16 v38, v38, v17, -v57
	v_fmac_f16_e32 v14, v17, v69
	s_wait_dscnt 0x9
	v_mul_f16_e32 v17, v70, v59
	s_wait_dscnt 0x4
	v_mul_f16_e32 v58, v75, v56
	v_mul_f16_e32 v56, v39, v56
	;; [unrolled: 1-line block ×3, first 2 shown]
	v_lshrrev_b32_e32 v59, 16, v15
	v_add_f16_e32 v69, v14, v71
	v_fma_f16 v39, v39, v18, -v58
	v_fmac_f16_e32 v56, v18, v75
	s_wait_dscnt 0x3
	v_mul_f16_e32 v18, v76, v60
	v_mul_f16_e32 v58, v37, v60
	v_lshrrev_b32_e32 v60, 16, v16
	v_add_f16_e32 v75, v38, v39
	v_add_f16_e32 v64, v14, v56
	v_fma_f16 v17, v36, v40, -v17
	v_fma_f16 v18, v37, v41, -v18
	v_fmac_f16_e32 v57, v40, v70
	v_fmac_f16_e32 v58, v41, v76
	v_mul_f16_e32 v36, v66, v59
	s_wait_dscnt 0x2
	v_mul_f16_e32 v37, v77, v60
	v_mul_f16_e32 v40, v32, v59
	;; [unrolled: 1-line block ×3, first 2 shown]
	v_lshrrev_b32_e32 v59, 16, v2
	v_lshrrev_b32_e32 v60, 16, v3
	v_sub_f16_e32 v63, v38, v39
	v_add_f16_e32 v38, v35, v38
	s_wait_dscnt 0x1
	v_mul_f16_e32 v70, v78, v61
	v_mul_f16_e32 v76, v68, v62
	;; [unrolled: 1-line block ×4, first 2 shown]
	v_sub_f16_e32 v14, v14, v56
	v_fma_f16 v64, -0.5, v64, v71
	v_add_f16_e32 v56, v56, v69
	v_fma_f16 v35, -0.5, v75, v35
	v_add_f16_e32 v69, v57, v58
	v_add_f16_e32 v75, v17, v18
	v_fma_f16 v32, v32, v15, -v36
	v_fma_f16 v34, v34, v16, -v37
	v_fmac_f16_e32 v40, v15, v66
	v_fmac_f16_e32 v41, v16, v77
	v_mul_f16_e32 v15, v65, v59
	v_mul_f16_e32 v16, v67, v60
	;; [unrolled: 1-line block ×4, first 2 shown]
	v_add_f16_e32 v38, v38, v39
	v_sub_f16_e32 v39, v17, v18
	v_add_f16_e32 v17, v31, v17
	v_fma_f16 v30, v30, v4, -v70
	v_fma_f16 v33, v33, v5, -v76
	v_fmac_f16_e32 v61, v4, v78
	v_fmac_f16_e32 v62, v5, v68
	v_add_co_u32 v23, vcc_lo, v80, v23
	v_add_f16_e32 v71, v57, v72
	v_sub_f16_e32 v57, v57, v58
	v_fmamk_f16 v4, v63, 0x3aee, v64
	v_fmac_f16_e32 v64, 0xbaee, v63
	v_fmamk_f16 v5, v14, 0xbaee, v35
	v_fmac_f16_e32 v35, 0x3aee, v14
	v_fma_f16 v14, -0.5, v69, v72
	v_fma_f16 v31, -0.5, v75, v31
	v_add_f16_e32 v59, v40, v41
	v_add_f16_e32 v63, v32, v34
	v_fma_f16 v15, v28, v2, -v15
	v_fma_f16 v16, v29, v3, -v16
	v_fmac_f16_e32 v36, v2, v65
	v_fmac_f16_e32 v37, v3, v67
	s_wait_alu 0xfffd
	v_add_co_ci_u32_e32 v24, vcc_lo, v81, v24, vcc_lo
	v_lshlrev_b64_e32 v[46:47], 2, v[46:47]
	v_add_co_u32 v42, vcc_lo, v80, v42
	v_add_f16_e32 v17, v17, v18
	v_sub_f16_e32 v18, v32, v34
	v_add_f16_e32 v32, v27, v32
	v_add_f16_e32 v3, v61, v62
	;; [unrolled: 1-line block ×3, first 2 shown]
	s_wait_alu 0xfffd
	v_add_co_ci_u32_e32 v43, vcc_lo, v81, v43, vcc_lo
	v_add_f16_e32 v60, v40, v73
	v_sub_f16_e32 v2, v30, v33
	s_wait_dscnt 0x0
	v_add_f16_e32 v28, v61, v79
	v_add_f16_e32 v30, v25, v30
	v_lshlrev_b64_e32 v[48:49], 2, v[48:49]
	v_add_co_u32 v44, vcc_lo, v80, v44
	v_pack_b32_f16 v38, v38, v56
	v_fmamk_f16 v56, v39, 0x3aee, v14
	v_fmac_f16_e32 v14, 0xbaee, v39
	v_fmamk_f16 v39, v57, 0xbaee, v31
	v_fmac_f16_e32 v31, 0x3aee, v57
	v_fma_f16 v57, -0.5, v59, v73
	v_fma_f16 v27, -0.5, v63, v27
	v_add_f16_e32 v59, v36, v37
	v_add_f16_e32 v63, v15, v16
	s_wait_alu 0xfffd
	v_add_co_ci_u32_e32 v45, vcc_lo, v81, v45, vcc_lo
	v_sub_f16_e32 v61, v61, v62
	v_add_f16_e32 v32, v32, v34
	v_sub_f16_e32 v34, v15, v16
	v_add_f16_e32 v15, v26, v15
	v_fma_f16 v3, -0.5, v3, v79
	v_fma_f16 v25, -0.5, v29, v25
	v_add_co_u32 v46, vcc_lo, v80, v46
	v_sub_f16_e32 v40, v40, v41
	v_add_f16_e32 v41, v41, v60
	v_add_f16_e32 v60, v36, v74
	;; [unrolled: 1-line block ×4, first 2 shown]
	s_wait_alu 0xfffd
	v_add_co_ci_u32_e32 v47, vcc_lo, v81, v47, vcc_lo
	v_sub_f16_e32 v36, v36, v37
	v_fma_f16 v33, -0.5, v59, v74
	v_fma_f16 v26, -0.5, v63, v26
	v_lshlrev_b64_e32 v[52:53], 2, v[52:53]
	v_add_co_u32 v48, vcc_lo, v80, v48
	v_add_f16_e32 v15, v15, v16
	v_fmamk_f16 v16, v2, 0x3aee, v3
	v_fmac_f16_e32 v3, 0xbaee, v2
	v_fmamk_f16 v2, v61, 0xbaee, v25
	v_fmac_f16_e32 v25, 0x3aee, v61
	s_wait_alu 0xfffd
	v_add_co_ci_u32_e32 v49, vcc_lo, v81, v49, vcc_lo
	v_lshlrev_b64_e32 v[54:55], 2, v[54:55]
	v_add_co_u32 v50, vcc_lo, v80, v50
	v_pack_b32_f16 v30, v35, v64
	v_add_f16_e32 v35, v37, v60
	v_pack_b32_f16 v28, v29, v28
	v_pack_b32_f16 v29, v32, v41
	v_fmamk_f16 v32, v34, 0x3aee, v33
	v_fmac_f16_e32 v33, 0xbaee, v34
	v_fmamk_f16 v34, v36, 0xbaee, v26
	v_fmac_f16_e32 v26, 0x3aee, v36
	s_wait_alu 0xfffd
	v_add_co_ci_u32_e32 v51, vcc_lo, v81, v51, vcc_lo
	v_add_co_u32 v52, vcc_lo, v80, v52
	v_add_f16_e32 v58, v58, v71
	v_pack_b32_f16 v4, v5, v4
	v_fmamk_f16 v5, v18, 0x3aee, v57
	v_fmac_f16_e32 v57, 0xbaee, v18
	v_fmamk_f16 v18, v40, 0xbaee, v27
	v_fmac_f16_e32 v27, 0x3aee, v40
	v_pack_b32_f16 v3, v25, v3
	v_pack_b32_f16 v2, v2, v16
	s_wait_alu 0xfffd
	v_add_co_ci_u32_e32 v53, vcc_lo, v81, v53, vcc_lo
	global_store_b32 v[6:7], v28, off
	v_pack_b32_f16 v6, v15, v35
	v_add_co_u32 v54, vcc_lo, v80, v54
	v_pack_b32_f16 v15, v26, v33
	v_pack_b32_f16 v16, v34, v32
	s_wait_alu 0xfffd
	v_add_co_ci_u32_e32 v55, vcc_lo, v81, v55, vcc_lo
	v_pack_b32_f16 v17, v17, v58
	v_pack_b32_f16 v14, v31, v14
	;; [unrolled: 1-line block ×5, first 2 shown]
	s_clause 0xd
	global_store_b32 v[0:1], v3, off
	global_store_b32 v[8:9], v2, off
	;; [unrolled: 1-line block ×14, first 2 shown]
.LBB0_14:
	s_nop 0
	s_sendmsg sendmsg(MSG_DEALLOC_VGPRS)
	s_endpgm
	.section	.rodata,"a",@progbits
	.p2align	6, 0x0
	.amdhsa_kernel fft_rtc_fwd_len135_factors_5_3_3_3_wgs_126_tpt_9_halfLds_half_ip_CI_sbrr_dirReg
		.amdhsa_group_segment_fixed_size 0
		.amdhsa_private_segment_fixed_size 0
		.amdhsa_kernarg_size 88
		.amdhsa_user_sgpr_count 2
		.amdhsa_user_sgpr_dispatch_ptr 0
		.amdhsa_user_sgpr_queue_ptr 0
		.amdhsa_user_sgpr_kernarg_segment_ptr 1
		.amdhsa_user_sgpr_dispatch_id 0
		.amdhsa_user_sgpr_private_segment_size 0
		.amdhsa_wavefront_size32 1
		.amdhsa_uses_dynamic_stack 0
		.amdhsa_enable_private_segment 0
		.amdhsa_system_sgpr_workgroup_id_x 1
		.amdhsa_system_sgpr_workgroup_id_y 0
		.amdhsa_system_sgpr_workgroup_id_z 0
		.amdhsa_system_sgpr_workgroup_info 0
		.amdhsa_system_vgpr_workitem_id 0
		.amdhsa_next_free_vgpr 96
		.amdhsa_next_free_sgpr 35
		.amdhsa_reserve_vcc 1
		.amdhsa_float_round_mode_32 0
		.amdhsa_float_round_mode_16_64 0
		.amdhsa_float_denorm_mode_32 3
		.amdhsa_float_denorm_mode_16_64 3
		.amdhsa_fp16_overflow 0
		.amdhsa_workgroup_processor_mode 1
		.amdhsa_memory_ordered 1
		.amdhsa_forward_progress 0
		.amdhsa_round_robin_scheduling 0
		.amdhsa_exception_fp_ieee_invalid_op 0
		.amdhsa_exception_fp_denorm_src 0
		.amdhsa_exception_fp_ieee_div_zero 0
		.amdhsa_exception_fp_ieee_overflow 0
		.amdhsa_exception_fp_ieee_underflow 0
		.amdhsa_exception_fp_ieee_inexact 0
		.amdhsa_exception_int_div_zero 0
	.end_amdhsa_kernel
	.text
.Lfunc_end0:
	.size	fft_rtc_fwd_len135_factors_5_3_3_3_wgs_126_tpt_9_halfLds_half_ip_CI_sbrr_dirReg, .Lfunc_end0-fft_rtc_fwd_len135_factors_5_3_3_3_wgs_126_tpt_9_halfLds_half_ip_CI_sbrr_dirReg
                                        ; -- End function
	.section	.AMDGPU.csdata,"",@progbits
; Kernel info:
; codeLenInByte = 9452
; NumSgprs: 37
; NumVgprs: 96
; ScratchSize: 0
; MemoryBound: 0
; FloatMode: 240
; IeeeMode: 1
; LDSByteSize: 0 bytes/workgroup (compile time only)
; SGPRBlocks: 4
; VGPRBlocks: 11
; NumSGPRsForWavesPerEU: 37
; NumVGPRsForWavesPerEU: 96
; Occupancy: 16
; WaveLimiterHint : 1
; COMPUTE_PGM_RSRC2:SCRATCH_EN: 0
; COMPUTE_PGM_RSRC2:USER_SGPR: 2
; COMPUTE_PGM_RSRC2:TRAP_HANDLER: 0
; COMPUTE_PGM_RSRC2:TGID_X_EN: 1
; COMPUTE_PGM_RSRC2:TGID_Y_EN: 0
; COMPUTE_PGM_RSRC2:TGID_Z_EN: 0
; COMPUTE_PGM_RSRC2:TIDIG_COMP_CNT: 0
	.text
	.p2alignl 7, 3214868480
	.fill 96, 4, 3214868480
	.type	__hip_cuid_92016563c94017ec,@object ; @__hip_cuid_92016563c94017ec
	.section	.bss,"aw",@nobits
	.globl	__hip_cuid_92016563c94017ec
__hip_cuid_92016563c94017ec:
	.byte	0                               ; 0x0
	.size	__hip_cuid_92016563c94017ec, 1

	.ident	"AMD clang version 19.0.0git (https://github.com/RadeonOpenCompute/llvm-project roc-6.4.0 25133 c7fe45cf4b819c5991fe208aaa96edf142730f1d)"
	.section	".note.GNU-stack","",@progbits
	.addrsig
	.addrsig_sym __hip_cuid_92016563c94017ec
	.amdgpu_metadata
---
amdhsa.kernels:
  - .args:
      - .actual_access:  read_only
        .address_space:  global
        .offset:         0
        .size:           8
        .value_kind:     global_buffer
      - .offset:         8
        .size:           8
        .value_kind:     by_value
      - .actual_access:  read_only
        .address_space:  global
        .offset:         16
        .size:           8
        .value_kind:     global_buffer
      - .actual_access:  read_only
        .address_space:  global
        .offset:         24
        .size:           8
        .value_kind:     global_buffer
      - .offset:         32
        .size:           8
        .value_kind:     by_value
      - .actual_access:  read_only
        .address_space:  global
        .offset:         40
        .size:           8
        .value_kind:     global_buffer
      - .actual_access:  read_only
        .address_space:  global
        .offset:         48
        .size:           8
        .value_kind:     global_buffer
      - .offset:         56
        .size:           4
        .value_kind:     by_value
      - .actual_access:  read_only
        .address_space:  global
        .offset:         64
        .size:           8
        .value_kind:     global_buffer
      - .actual_access:  read_only
        .address_space:  global
        .offset:         72
        .size:           8
        .value_kind:     global_buffer
      - .address_space:  global
        .offset:         80
        .size:           8
        .value_kind:     global_buffer
    .group_segment_fixed_size: 0
    .kernarg_segment_align: 8
    .kernarg_segment_size: 88
    .language:       OpenCL C
    .language_version:
      - 2
      - 0
    .max_flat_workgroup_size: 126
    .name:           fft_rtc_fwd_len135_factors_5_3_3_3_wgs_126_tpt_9_halfLds_half_ip_CI_sbrr_dirReg
    .private_segment_fixed_size: 0
    .sgpr_count:     37
    .sgpr_spill_count: 0
    .symbol:         fft_rtc_fwd_len135_factors_5_3_3_3_wgs_126_tpt_9_halfLds_half_ip_CI_sbrr_dirReg.kd
    .uniform_work_group_size: 1
    .uses_dynamic_stack: false
    .vgpr_count:     96
    .vgpr_spill_count: 0
    .wavefront_size: 32
    .workgroup_processor_mode: 1
amdhsa.target:   amdgcn-amd-amdhsa--gfx1201
amdhsa.version:
  - 1
  - 2
...

	.end_amdgpu_metadata
